;; amdgpu-corpus repo=ROCm/rocFFT kind=compiled arch=gfx1201 opt=O3
	.text
	.amdgcn_target "amdgcn-amd-amdhsa--gfx1201"
	.amdhsa_code_object_version 6
	.protected	fft_rtc_back_len224_factors_7_2_2_2_2_2_wgs_64_tpt_16_halfLds_sp_ip_CI_sbrr_dirReg ; -- Begin function fft_rtc_back_len224_factors_7_2_2_2_2_2_wgs_64_tpt_16_halfLds_sp_ip_CI_sbrr_dirReg
	.globl	fft_rtc_back_len224_factors_7_2_2_2_2_2_wgs_64_tpt_16_halfLds_sp_ip_CI_sbrr_dirReg
	.p2align	8
	.type	fft_rtc_back_len224_factors_7_2_2_2_2_2_wgs_64_tpt_16_halfLds_sp_ip_CI_sbrr_dirReg,@function
fft_rtc_back_len224_factors_7_2_2_2_2_2_wgs_64_tpt_16_halfLds_sp_ip_CI_sbrr_dirReg: ; @fft_rtc_back_len224_factors_7_2_2_2_2_2_wgs_64_tpt_16_halfLds_sp_ip_CI_sbrr_dirReg
; %bb.0:
	s_clause 0x2
	s_load_b64 s[12:13], s[0:1], 0x18
	s_load_b128 s[4:7], s[0:1], 0x0
	s_load_b64 s[10:11], s[0:1], 0x50
	v_lshrrev_b32_e32 v9, 4, v0
	v_mov_b32_e32 v3, 0
	v_mov_b32_e32 v1, 0
	;; [unrolled: 1-line block ×3, first 2 shown]
	s_delay_alu instid0(VALU_DEP_4) | instskip(NEXT) | instid1(VALU_DEP_4)
	v_lshl_or_b32 v5, ttmp9, 2, v9
	v_mov_b32_e32 v6, v3
	s_wait_kmcnt 0x0
	s_load_b64 s[8:9], s[12:13], 0x0
	v_cmp_lt_u64_e64 s2, s[6:7], 2
	s_delay_alu instid0(VALU_DEP_1)
	s_and_b32 vcc_lo, exec_lo, s2
	s_cbranch_vccnz .LBB0_8
; %bb.1:
	s_load_b64 s[2:3], s[0:1], 0x10
	v_mov_b32_e32 v1, 0
	v_mov_b32_e32 v2, 0
	s_add_nc_u64 s[14:15], s[12:13], 8
	s_mov_b64 s[16:17], 1
	s_wait_kmcnt 0x0
	s_add_nc_u64 s[18:19], s[2:3], 8
	s_mov_b32 s3, 0
.LBB0_2:                                ; =>This Inner Loop Header: Depth=1
	s_load_b64 s[20:21], s[18:19], 0x0
                                        ; implicit-def: $vgpr7_vgpr8
	s_mov_b32 s2, exec_lo
	s_wait_kmcnt 0x0
	v_or_b32_e32 v4, s21, v6
	s_delay_alu instid0(VALU_DEP_1)
	v_cmpx_ne_u64_e32 0, v[3:4]
	s_wait_alu 0xfffe
	s_xor_b32 s22, exec_lo, s2
	s_cbranch_execz .LBB0_4
; %bb.3:                                ;   in Loop: Header=BB0_2 Depth=1
	s_cvt_f32_u32 s2, s20
	s_cvt_f32_u32 s23, s21
	s_sub_nc_u64 s[26:27], 0, s[20:21]
	s_wait_alu 0xfffe
	s_delay_alu instid0(SALU_CYCLE_1) | instskip(SKIP_1) | instid1(SALU_CYCLE_2)
	s_fmamk_f32 s2, s23, 0x4f800000, s2
	s_wait_alu 0xfffe
	v_s_rcp_f32 s2, s2
	s_delay_alu instid0(TRANS32_DEP_1) | instskip(SKIP_1) | instid1(SALU_CYCLE_2)
	s_mul_f32 s2, s2, 0x5f7ffffc
	s_wait_alu 0xfffe
	s_mul_f32 s23, s2, 0x2f800000
	s_wait_alu 0xfffe
	s_delay_alu instid0(SALU_CYCLE_2) | instskip(SKIP_1) | instid1(SALU_CYCLE_2)
	s_trunc_f32 s23, s23
	s_wait_alu 0xfffe
	s_fmamk_f32 s2, s23, 0xcf800000, s2
	s_cvt_u32_f32 s25, s23
	s_wait_alu 0xfffe
	s_delay_alu instid0(SALU_CYCLE_1) | instskip(SKIP_1) | instid1(SALU_CYCLE_2)
	s_cvt_u32_f32 s24, s2
	s_wait_alu 0xfffe
	s_mul_u64 s[28:29], s[26:27], s[24:25]
	s_wait_alu 0xfffe
	s_mul_hi_u32 s31, s24, s29
	s_mul_i32 s30, s24, s29
	s_mul_hi_u32 s2, s24, s28
	s_mul_i32 s33, s25, s28
	s_wait_alu 0xfffe
	s_add_nc_u64 s[30:31], s[2:3], s[30:31]
	s_mul_hi_u32 s23, s25, s28
	s_mul_hi_u32 s34, s25, s29
	s_add_co_u32 s2, s30, s33
	s_wait_alu 0xfffe
	s_add_co_ci_u32 s2, s31, s23
	s_mul_i32 s28, s25, s29
	s_add_co_ci_u32 s29, s34, 0
	s_wait_alu 0xfffe
	s_add_nc_u64 s[28:29], s[2:3], s[28:29]
	s_wait_alu 0xfffe
	v_add_co_u32 v4, s2, s24, s28
	s_delay_alu instid0(VALU_DEP_1) | instskip(SKIP_1) | instid1(VALU_DEP_1)
	s_cmp_lg_u32 s2, 0
	s_add_co_ci_u32 s25, s25, s29
	v_readfirstlane_b32 s24, v4
	s_wait_alu 0xfffe
	s_delay_alu instid0(VALU_DEP_1)
	s_mul_u64 s[26:27], s[26:27], s[24:25]
	s_wait_alu 0xfffe
	s_mul_hi_u32 s29, s24, s27
	s_mul_i32 s28, s24, s27
	s_mul_hi_u32 s2, s24, s26
	s_mul_i32 s30, s25, s26
	s_wait_alu 0xfffe
	s_add_nc_u64 s[28:29], s[2:3], s[28:29]
	s_mul_hi_u32 s23, s25, s26
	s_mul_hi_u32 s24, s25, s27
	s_wait_alu 0xfffe
	s_add_co_u32 s2, s28, s30
	s_add_co_ci_u32 s2, s29, s23
	s_mul_i32 s26, s25, s27
	s_add_co_ci_u32 s27, s24, 0
	s_wait_alu 0xfffe
	s_add_nc_u64 s[26:27], s[2:3], s[26:27]
	s_wait_alu 0xfffe
	v_add_co_u32 v4, s2, v4, s26
	s_delay_alu instid0(VALU_DEP_1) | instskip(SKIP_1) | instid1(VALU_DEP_1)
	s_cmp_lg_u32 s2, 0
	s_add_co_ci_u32 s2, s25, s27
	v_mul_hi_u32 v14, v5, v4
	s_wait_alu 0xfffe
	v_mad_co_u64_u32 v[7:8], null, v5, s2, 0
	v_mad_co_u64_u32 v[10:11], null, v6, v4, 0
	;; [unrolled: 1-line block ×3, first 2 shown]
	s_delay_alu instid0(VALU_DEP_3) | instskip(SKIP_1) | instid1(VALU_DEP_4)
	v_add_co_u32 v4, vcc_lo, v14, v7
	s_wait_alu 0xfffd
	v_add_co_ci_u32_e32 v7, vcc_lo, 0, v8, vcc_lo
	s_delay_alu instid0(VALU_DEP_2) | instskip(SKIP_1) | instid1(VALU_DEP_2)
	v_add_co_u32 v4, vcc_lo, v4, v10
	s_wait_alu 0xfffd
	v_add_co_ci_u32_e32 v4, vcc_lo, v7, v11, vcc_lo
	s_wait_alu 0xfffd
	v_add_co_ci_u32_e32 v7, vcc_lo, 0, v13, vcc_lo
	s_delay_alu instid0(VALU_DEP_2) | instskip(SKIP_1) | instid1(VALU_DEP_2)
	v_add_co_u32 v4, vcc_lo, v4, v12
	s_wait_alu 0xfffd
	v_add_co_ci_u32_e32 v10, vcc_lo, 0, v7, vcc_lo
	s_delay_alu instid0(VALU_DEP_2) | instskip(SKIP_1) | instid1(VALU_DEP_3)
	v_mul_lo_u32 v11, s21, v4
	v_mad_co_u64_u32 v[7:8], null, s20, v4, 0
	v_mul_lo_u32 v12, s20, v10
	s_delay_alu instid0(VALU_DEP_2) | instskip(NEXT) | instid1(VALU_DEP_2)
	v_sub_co_u32 v7, vcc_lo, v5, v7
	v_add3_u32 v8, v8, v12, v11
	s_delay_alu instid0(VALU_DEP_1) | instskip(SKIP_1) | instid1(VALU_DEP_1)
	v_sub_nc_u32_e32 v11, v6, v8
	s_wait_alu 0xfffd
	v_subrev_co_ci_u32_e64 v11, s2, s21, v11, vcc_lo
	v_add_co_u32 v12, s2, v4, 2
	s_wait_alu 0xf1ff
	v_add_co_ci_u32_e64 v13, s2, 0, v10, s2
	v_sub_co_u32 v14, s2, v7, s20
	v_sub_co_ci_u32_e32 v8, vcc_lo, v6, v8, vcc_lo
	s_wait_alu 0xf1ff
	v_subrev_co_ci_u32_e64 v11, s2, 0, v11, s2
	s_delay_alu instid0(VALU_DEP_3) | instskip(NEXT) | instid1(VALU_DEP_3)
	v_cmp_le_u32_e32 vcc_lo, s20, v14
	v_cmp_eq_u32_e64 s2, s21, v8
	s_wait_alu 0xfffd
	v_cndmask_b32_e64 v14, 0, -1, vcc_lo
	v_cmp_le_u32_e32 vcc_lo, s21, v11
	s_wait_alu 0xfffd
	v_cndmask_b32_e64 v15, 0, -1, vcc_lo
	v_cmp_le_u32_e32 vcc_lo, s20, v7
	;; [unrolled: 3-line block ×3, first 2 shown]
	s_wait_alu 0xfffd
	v_cndmask_b32_e64 v16, 0, -1, vcc_lo
	v_cmp_eq_u32_e32 vcc_lo, s21, v11
	s_wait_alu 0xf1ff
	s_delay_alu instid0(VALU_DEP_2)
	v_cndmask_b32_e64 v7, v16, v7, s2
	s_wait_alu 0xfffd
	v_cndmask_b32_e32 v11, v15, v14, vcc_lo
	v_add_co_u32 v14, vcc_lo, v4, 1
	s_wait_alu 0xfffd
	v_add_co_ci_u32_e32 v15, vcc_lo, 0, v10, vcc_lo
	s_delay_alu instid0(VALU_DEP_3) | instskip(SKIP_1) | instid1(VALU_DEP_2)
	v_cmp_ne_u32_e32 vcc_lo, 0, v11
	s_wait_alu 0xfffd
	v_dual_cndmask_b32 v8, v15, v13 :: v_dual_cndmask_b32 v11, v14, v12
	v_cmp_ne_u32_e32 vcc_lo, 0, v7
	s_wait_alu 0xfffd
	s_delay_alu instid0(VALU_DEP_2)
	v_dual_cndmask_b32 v8, v10, v8 :: v_dual_cndmask_b32 v7, v4, v11
.LBB0_4:                                ;   in Loop: Header=BB0_2 Depth=1
	s_wait_alu 0xfffe
	s_and_not1_saveexec_b32 s2, s22
	s_cbranch_execz .LBB0_6
; %bb.5:                                ;   in Loop: Header=BB0_2 Depth=1
	v_cvt_f32_u32_e32 v4, s20
	s_sub_co_i32 s22, 0, s20
	s_delay_alu instid0(VALU_DEP_1) | instskip(NEXT) | instid1(TRANS32_DEP_1)
	v_rcp_iflag_f32_e32 v4, v4
	v_mul_f32_e32 v4, 0x4f7ffffe, v4
	s_delay_alu instid0(VALU_DEP_1) | instskip(SKIP_1) | instid1(VALU_DEP_1)
	v_cvt_u32_f32_e32 v4, v4
	s_wait_alu 0xfffe
	v_mul_lo_u32 v7, s22, v4
	s_delay_alu instid0(VALU_DEP_1) | instskip(NEXT) | instid1(VALU_DEP_1)
	v_mul_hi_u32 v7, v4, v7
	v_add_nc_u32_e32 v4, v4, v7
	s_delay_alu instid0(VALU_DEP_1) | instskip(NEXT) | instid1(VALU_DEP_1)
	v_mul_hi_u32 v4, v5, v4
	v_mul_lo_u32 v7, v4, s20
	v_add_nc_u32_e32 v8, 1, v4
	s_delay_alu instid0(VALU_DEP_2) | instskip(NEXT) | instid1(VALU_DEP_1)
	v_sub_nc_u32_e32 v7, v5, v7
	v_subrev_nc_u32_e32 v10, s20, v7
	v_cmp_le_u32_e32 vcc_lo, s20, v7
	s_wait_alu 0xfffd
	s_delay_alu instid0(VALU_DEP_2) | instskip(NEXT) | instid1(VALU_DEP_1)
	v_dual_cndmask_b32 v7, v7, v10 :: v_dual_cndmask_b32 v4, v4, v8
	v_cmp_le_u32_e32 vcc_lo, s20, v7
	s_delay_alu instid0(VALU_DEP_2) | instskip(SKIP_1) | instid1(VALU_DEP_1)
	v_add_nc_u32_e32 v8, 1, v4
	s_wait_alu 0xfffd
	v_dual_cndmask_b32 v7, v4, v8 :: v_dual_mov_b32 v8, v3
.LBB0_6:                                ;   in Loop: Header=BB0_2 Depth=1
	s_wait_alu 0xfffe
	s_or_b32 exec_lo, exec_lo, s2
	s_load_b64 s[22:23], s[14:15], 0x0
	s_delay_alu instid0(VALU_DEP_1)
	v_mul_lo_u32 v4, v8, s20
	v_mul_lo_u32 v12, v7, s21
	v_mad_co_u64_u32 v[10:11], null, v7, s20, 0
	s_add_nc_u64 s[16:17], s[16:17], 1
	s_add_nc_u64 s[14:15], s[14:15], 8
	s_wait_alu 0xfffe
	v_cmp_ge_u64_e64 s2, s[16:17], s[6:7]
	s_add_nc_u64 s[18:19], s[18:19], 8
	s_delay_alu instid0(VALU_DEP_2) | instskip(NEXT) | instid1(VALU_DEP_3)
	v_add3_u32 v4, v11, v12, v4
	v_sub_co_u32 v5, vcc_lo, v5, v10
	s_wait_alu 0xfffd
	s_delay_alu instid0(VALU_DEP_2) | instskip(SKIP_3) | instid1(VALU_DEP_2)
	v_sub_co_ci_u32_e32 v4, vcc_lo, v6, v4, vcc_lo
	s_and_b32 vcc_lo, exec_lo, s2
	s_wait_kmcnt 0x0
	v_mul_lo_u32 v6, s23, v5
	v_mul_lo_u32 v4, s22, v4
	v_mad_co_u64_u32 v[1:2], null, s22, v5, v[1:2]
	s_delay_alu instid0(VALU_DEP_1)
	v_add3_u32 v2, v6, v2, v4
	s_wait_alu 0xfffe
	s_cbranch_vccnz .LBB0_9
; %bb.7:                                ;   in Loop: Header=BB0_2 Depth=1
	v_dual_mov_b32 v5, v7 :: v_dual_mov_b32 v6, v8
	s_branch .LBB0_2
.LBB0_8:
	v_dual_mov_b32 v8, v6 :: v_dual_mov_b32 v7, v5
.LBB0_9:
	s_lshl_b64 s[2:3], s[6:7], 3
	v_and_b32_e32 v4, 15, v0
	s_wait_alu 0xfffe
	s_add_nc_u64 s[2:3], s[12:13], s[2:3]
                                        ; implicit-def: $vgpr19
                                        ; implicit-def: $vgpr22
                                        ; implicit-def: $vgpr10
                                        ; implicit-def: $vgpr12
                                        ; implicit-def: $vgpr14
                                        ; implicit-def: $vgpr17_vgpr18
                                        ; implicit-def: $vgpr15_vgpr16
	s_load_b64 s[2:3], s[2:3], 0x0
	s_load_b64 s[0:1], s[0:1], 0x20
	v_or_b32_e32 v0, 32, v4
	v_or_b32_e32 v51, 48, v4
	;; [unrolled: 1-line block ×5, first 2 shown]
	s_wait_kmcnt 0x0
	v_mul_lo_u32 v3, s2, v8
	v_mul_lo_u32 v5, s3, v7
	v_mad_co_u64_u32 v[25:26], null, s2, v7, v[1:2]
	v_cmp_gt_u64_e32 vcc_lo, s[0:1], v[7:8]
	v_cmp_le_u64_e64 s0, s[0:1], v[7:8]
	v_or_b32_e32 v2, 16, v4
                                        ; implicit-def: $sgpr2_sgpr3
                                        ; implicit-def: $vgpr8
	s_delay_alu instid0(VALU_DEP_4) | instskip(NEXT) | instid1(VALU_DEP_3)
	v_add3_u32 v26, v5, v26, v3
	s_and_saveexec_b32 s1, s0
	s_wait_alu 0xfffe
	s_xor_b32 s0, exec_lo, s1
	s_cbranch_execz .LBB0_11
; %bb.10:
	v_or_b32_e32 v19, 16, v4
	v_mov_b32_e32 v5, 0
	v_or_b32_e32 v22, 32, v4
	v_or_b32_e32 v8, 48, v4
	;; [unrolled: 1-line block ×4, first 2 shown]
	v_mov_b32_e32 v20, v5
	v_mov_b32_e32 v17, v19
	v_or_b32_e32 v14, 0x60, v4
	s_mov_b64 s[2:3], 0
	s_delay_alu instid0(VALU_DEP_3) | instskip(NEXT) | instid1(VALU_DEP_1)
	v_dual_mov_b32 v18, v20 :: v_dual_mov_b32 v23, v5
	v_dual_mov_b32 v15, v22 :: v_dual_mov_b32 v16, v23
.LBB0_11:
	s_wait_alu 0xfffe
	s_or_saveexec_b32 s1, s0
	v_lshlrev_b64_e32 v[6:7], 3, v[25:26]
	v_dual_mov_b32 v24, s3 :: v_dual_mov_b32 v23, s2
	v_or_b32_e32 v57, 0x80, v4
	v_or_b32_e32 v55, 0xa0, v4
	;; [unrolled: 1-line block ×7, first 2 shown]
	v_dual_mov_b32 v28, s3 :: v_dual_mov_b32 v27, s2
	v_dual_mov_b32 v44, s3 :: v_dual_mov_b32 v43, s2
	;; [unrolled: 1-line block ×7, first 2 shown]
                                        ; implicit-def: $vgpr48
                                        ; implicit-def: $vgpr36
                                        ; implicit-def: $vgpr40
                                        ; implicit-def: $vgpr42
                                        ; implicit-def: $vgpr46
                                        ; implicit-def: $vgpr30
	s_wait_alu 0xfffe
	s_xor_b32 exec_lo, exec_lo, s1
	s_cbranch_execz .LBB0_13
; %bb.12:
	v_mad_co_u64_u32 v[10:11], null, s8, v4, 0
	v_mad_co_u64_u32 v[12:13], null, s8, v0, 0
	;; [unrolled: 1-line block ×4, first 2 shown]
	s_delay_alu instid0(VALU_DEP_4)
	v_mov_b32_e32 v1, v11
	v_add_co_u32 v5, s0, s10, v6
	v_mov_b32_e32 v3, v13
	s_wait_alu 0xf1ff
	v_add_co_ci_u32_e64 v8, s0, s11, v7, s0
	v_mad_co_u64_u32 v[18:19], null, s9, v4, v[1:2]
	s_delay_alu instid0(VALU_DEP_3) | instskip(SKIP_4) | instid1(VALU_DEP_4)
	v_mad_co_u64_u32 v[19:20], null, s9, v0, v[3:4]
	v_mov_b32_e32 v1, v15
	v_mov_b32_e32 v3, v17
	v_mad_co_u64_u32 v[31:32], null, s8, v53, 0
	v_mov_b32_e32 v11, v18
	v_mad_co_u64_u32 v[17:18], null, s9, v50, v[1:2]
	;; [unrolled: 2-line block ×3, first 2 shown]
	v_mad_co_u64_u32 v[19:20], null, s8, v57, 0
	v_lshlrev_b64_e32 v[10:11], 3, v[10:11]
	v_mov_b32_e32 v15, v17
	v_lshlrev_b64_e32 v[12:13], 3, v[12:13]
	v_mad_co_u64_u32 v[33:34], null, s8, v2, 0
	v_mov_b32_e32 v17, v18
	v_mov_b32_e32 v1, v20
	v_add_co_u32 v10, s0, v5, v10
	v_lshlrev_b64_e32 v[14:15], 3, v[14:15]
	s_wait_alu 0xf1ff
	v_add_co_ci_u32_e64 v11, s0, v8, v11, s0
	v_mad_co_u64_u32 v[20:21], null, s9, v57, v[1:2]
	v_mad_co_u64_u32 v[21:22], null, s8, v55, 0
	v_add_co_u32 v12, s0, v5, v12
	v_lshlrev_b64_e32 v[16:17], 3, v[16:17]
	s_wait_alu 0xf1ff
	v_add_co_ci_u32_e64 v13, s0, v8, v13, s0
	v_add_co_u32 v14, s0, v5, v14
	v_mov_b32_e32 v1, v22
	s_wait_alu 0xf1ff
	v_add_co_ci_u32_e64 v15, s0, v8, v15, s0
	v_add_co_u32 v16, s0, v5, v16
	s_delay_alu instid0(VALU_DEP_3)
	v_mad_co_u64_u32 v[22:23], null, s9, v55, v[1:2]
	v_mov_b32_e32 v1, v32
	v_mov_b32_e32 v3, v34
	s_wait_alu 0xf1ff
	v_add_co_ci_u32_e64 v17, s0, v8, v17, s0
	s_clause 0x3
	global_load_b64 v[25:26], v[10:11], off
	global_load_b64 v[23:24], v[12:13], off
	;; [unrolled: 1-line block ×4, first 2 shown]
	v_mad_co_u64_u32 v[12:13], null, s9, v53, v[1:2]
	v_mad_co_u64_u32 v[13:14], null, s9, v2, v[3:4]
	;; [unrolled: 1-line block ×3, first 2 shown]
	v_lshlrev_b64_e32 v[10:11], 3, v[19:20]
	v_lshlrev_b64_e32 v[16:17], 3, v[21:22]
	v_mov_b32_e32 v22, v0
	v_mov_b32_e32 v32, v12
	;; [unrolled: 1-line block ×3, first 2 shown]
	v_add_co_u32 v10, s0, v5, v10
	v_mov_b32_e32 v1, v15
	s_wait_alu 0xf1ff
	v_add_co_ci_u32_e64 v11, s0, v8, v11, s0
	v_add_co_u32 v12, s0, v5, v16
	v_lshlrev_b64_e32 v[15:16], 3, v[31:32]
	v_mad_co_u64_u32 v[31:32], null, s8, v49, 0
	s_wait_alu 0xf1ff
	v_add_co_ci_u32_e64 v13, s0, v8, v17, s0
	v_lshlrev_b64_e32 v[17:18], 3, v[33:34]
	v_mad_co_u64_u32 v[19:20], null, s9, v51, v[1:2]
	v_add_co_u32 v20, s0, v5, v15
	s_wait_alu 0xf1ff
	v_add_co_ci_u32_e64 v21, s0, v8, v16, s0
	s_delay_alu instid0(VALU_DEP_4)
	v_add_co_u32 v16, s0, v5, v17
	v_mov_b32_e32 v1, v32
	s_wait_alu 0xf1ff
	v_add_co_ci_u32_e64 v17, s0, v8, v18, s0
	v_mov_b32_e32 v15, v19
	v_mad_co_u64_u32 v[18:19], null, s8, v59, 0
	v_mad_co_u64_u32 v[32:33], null, s9, v49, v[1:2]
	;; [unrolled: 1-line block ×3, first 2 shown]
	s_clause 0x3
	global_load_b64 v[43:44], v[10:11], off
	global_load_b64 v[45:46], v[12:13], off
	global_load_b64 v[47:48], v[20:21], off
	global_load_b64 v[20:21], v[16:17], off
	v_lshlrev_b64_e32 v[10:11], 3, v[14:15]
	v_mov_b32_e32 v1, v19
	v_lshlrev_b64_e32 v[31:32], 3, v[31:32]
	v_mov_b32_e32 v3, v34
	s_delay_alu instid0(VALU_DEP_3) | instskip(SKIP_1) | instid1(VALU_DEP_3)
	v_mad_co_u64_u32 v[12:13], null, s9, v59, v[1:2]
	v_mad_co_u64_u32 v[13:14], null, s8, v56, 0
	;; [unrolled: 1-line block ×4, first 2 shown]
	s_delay_alu instid0(VALU_DEP_4) | instskip(SKIP_1) | instid1(VALU_DEP_4)
	v_mov_b32_e32 v19, v12
	v_add_co_u32 v10, s0, v5, v10
	v_dual_mov_b32 v1, v14 :: v_dual_mov_b32 v34, v15
	s_wait_alu 0xf1ff
	v_add_co_ci_u32_e64 v11, s0, v8, v11, s0
	v_add_co_u32 v31, s0, v5, v31
	s_delay_alu instid0(VALU_DEP_3)
	v_mad_co_u64_u32 v[14:15], null, s9, v56, v[1:2]
	v_mov_b32_e32 v1, v17
	v_lshlrev_b64_e32 v[17:18], 3, v[18:19]
	s_wait_alu 0xf1ff
	v_add_co_ci_u32_e64 v32, s0, v8, v32, s0
	v_lshlrev_b64_e32 v[33:34], 3, v[33:34]
	v_mad_co_u64_u32 v[35:36], null, s9, v54, v[1:2]
	s_delay_alu instid0(VALU_DEP_4)
	v_add_co_u32 v39, s0, v5, v17
	v_lshlrev_b64_e32 v[12:13], 3, v[13:14]
	s_wait_alu 0xf1ff
	v_add_co_ci_u32_e64 v40, s0, v8, v18, s0
	v_add_co_u32 v14, s0, v5, v33
	v_mov_b32_e32 v17, v35
	s_wait_alu 0xf1ff
	v_add_co_ci_u32_e64 v15, s0, v8, v34, s0
	v_add_co_u32 v12, s0, v5, v12
	s_delay_alu instid0(VALU_DEP_3) | instskip(SKIP_3) | instid1(VALU_DEP_3)
	v_lshlrev_b64_e32 v[16:17], 3, v[16:17]
	s_wait_alu 0xf1ff
	v_add_co_ci_u32_e64 v13, s0, v8, v13, s0
	v_mov_b32_e32 v19, v2
	v_add_co_u32 v16, s0, v5, v16
	s_wait_alu 0xf1ff
	v_add_co_ci_u32_e64 v17, s0, v8, v17, s0
	s_clause 0x5
	global_load_b64 v[37:38], v[10:11], off
	global_load_b64 v[33:34], v[31:32], off
	;; [unrolled: 1-line block ×6, first 2 shown]
	v_dual_mov_b32 v5, 0 :: v_dual_mov_b32 v14, v52
	v_mov_b32_e32 v12, v49
	v_mov_b32_e32 v10, v50
	s_delay_alu instid0(VALU_DEP_3) | instskip(NEXT) | instid1(VALU_DEP_1)
	v_dual_mov_b32 v8, v51 :: v_dual_mov_b32 v1, v5
	v_dual_mov_b32 v3, v5 :: v_dual_mov_b32 v16, v1
	s_delay_alu instid0(VALU_DEP_1)
	v_dual_mov_b32 v18, v3 :: v_dual_mov_b32 v15, v0
	v_mov_b32_e32 v17, v2
.LBB0_13:
	s_or_b32 exec_lo, exec_lo, s1
	v_mul_u32_u24_e32 v1, 0xe0, v9
	s_wait_loadcnt 0x7
	v_add_f32_e32 v3, v47, v23
	v_sub_f32_e32 v11, v23, v47
	v_add_f32_e32 v23, v45, v27
	v_sub_f32_e32 v27, v27, v45
	;; [unrolled: 2-line block ×6, first 2 shown]
	v_add_f32_e32 v60, v27, v29
	v_add_f32_e32 v44, v9, v24
	v_sub_f32_e32 v62, v29, v27
	v_add_f32_e32 v43, v3, v23
	v_dual_sub_f32 v47, v23, v3 :: v_dual_sub_f32 v48, v24, v9
	s_delay_alu instid0(VALU_DEP_4) | instskip(SKIP_3) | instid1(VALU_DEP_3)
	v_dual_sub_f32 v3, v3, v45 :: v_dual_add_f32 v44, v44, v46
	v_dual_sub_f32 v24, v46, v24 :: v_dual_sub_f32 v9, v9, v46
	v_add_f32_e32 v61, v28, v30
	v_sub_f32_e32 v63, v30, v28
	v_dual_sub_f32 v29, v11, v29 :: v_dual_mul_f32 v24, 0x3d64c772, v24
	v_add_f32_e32 v43, v43, v45
	v_dual_sub_f32 v28, v28, v13 :: v_dual_sub_f32 v23, v45, v23
	v_dual_mul_f32 v46, 0x3f4a47b2, v9 :: v_dual_add_f32 v45, v44, v26
	v_sub_f32_e32 v27, v27, v11
	v_fmamk_f32 v9, v9, 0x3f4a47b2, v24
	v_fma_f32 v24, 0x3f3bfb3b, v48, -v24
	v_sub_f32_e32 v30, v13, v30
	v_dual_fmamk_f32 v44, v44, 0xbf955555, v45 :: v_dual_add_f32 v11, v11, v60
	v_dual_mul_f32 v26, 0x3f4a47b2, v3 :: v_dual_add_f32 v13, v13, v61
	v_mul_f32_e32 v60, 0x3f08b237, v62
	s_delay_alu instid0(VALU_DEP_3)
	v_dual_add_f32 v24, v24, v44 :: v_dual_mul_f32 v61, 0x3f08b237, v63
	v_add_f32_e32 v9, v9, v44
	v_dual_mul_f32 v63, 0xbf5ff5aa, v28 :: v_dual_mul_f32 v62, 0xbf5ff5aa, v27
	v_fma_f32 v26, 0xbf3bfb3b, v47, -v26
	v_add_f32_e32 v25, v43, v25
	v_fma_f32 v46, 0xbf3bfb3b, v48, -v46
	v_fmamk_f32 v48, v30, 0xbeae86e6, v61
	v_fma_f32 v30, 0x3eae86e6, v30, -v63
	v_fma_f32 v27, 0xbf5ff5aa, v27, -v60
	v_cmp_gt_u32_e64 s0, 14, v4
	v_lshlrev_b64_e32 v[17:18], 3, v[17:18]
	v_fmac_f32_e32 v48, 0xbee1c552, v13
	v_fmac_f32_e32 v30, 0xbee1c552, v13
	v_fmamk_f32 v43, v43, 0xbf955555, v25
	v_fmac_f32_e32 v27, 0xbee1c552, v11
	s_delay_alu instid0(VALU_DEP_2) | instskip(SKIP_1) | instid1(VALU_DEP_3)
	v_add_f32_e32 v26, v26, v43
	v_mul_f32_e32 v23, 0x3d64c772, v23
	v_sub_f32_e32 v63, v24, v27
	s_delay_alu instid0(VALU_DEP_2)
	v_fmamk_f32 v3, v3, 0x3f4a47b2, v23
	v_fma_f32 v23, 0x3f3bfb3b, v47, -v23
	v_fmamk_f32 v47, v29, 0xbeae86e6, v60
	v_fma_f32 v29, 0x3eae86e6, v29, -v62
	v_add_f32_e32 v62, v27, v24
	v_dual_sub_f32 v24, v26, v30 :: v_dual_add_f32 v3, v3, v43
	v_add_f32_e32 v23, v23, v43
	v_add_f32_e32 v43, v46, v44
	v_dual_fmac_f32 v29, 0xbee1c552, v11 :: v_dual_add_f32 v46, v26, v30
	s_wait_loadcnt 0x1
	v_sub_f32_e32 v30, v33, v39
	s_wait_loadcnt 0x0
	v_dual_sub_f32 v26, v37, v41 :: v_dual_sub_f32 v27, v38, v42
	v_sub_f32_e32 v60, v43, v29
	v_fma_f32 v28, 0xbf5ff5aa, v28, -v61
	v_add_f32_e32 v43, v29, v43
	s_delay_alu instid0(VALU_DEP_2) | instskip(NEXT) | instid1(VALU_DEP_1)
	v_dual_add_f32 v29, v40, v34 :: v_dual_fmac_f32 v28, 0xbee1c552, v13
	v_sub_f32_e32 v61, v23, v28
	v_add_f32_e32 v23, v23, v28
	v_dual_add_f32 v28, v39, v33 :: v_dual_fmac_f32 v47, 0xbee1c552, v11
	v_add_f32_e32 v11, v42, v38
	v_dual_sub_f32 v33, v34, v40 :: v_dual_add_f32 v34, v35, v31
	v_sub_f32_e32 v31, v31, v35
	s_delay_alu instid0(VALU_DEP_4) | instskip(NEXT) | instid1(VALU_DEP_2)
	v_dual_add_f32 v13, v3, v48 :: v_dual_sub_f32 v44, v9, v47
	v_dual_add_f32 v40, v30, v31 :: v_dual_add_f32 v47, v47, v9
	v_dual_add_f32 v9, v41, v37 :: v_dual_sub_f32 v42, v31, v30
	v_sub_f32_e32 v31, v26, v31
	v_dual_sub_f32 v30, v30, v26 :: v_dual_add_f32 v37, v36, v32
	s_delay_alu instid0(VALU_DEP_3) | instskip(SKIP_2) | instid1(VALU_DEP_3)
	v_dual_add_f32 v35, v9, v28 :: v_dual_sub_f32 v38, v28, v9
	v_dual_sub_f32 v9, v9, v34 :: v_dual_sub_f32 v28, v34, v28
	v_sub_f32_e32 v32, v32, v36
	v_add_f32_e32 v34, v35, v34
	v_add_f32_e32 v26, v26, v40
	v_dual_mul_f32 v40, 0x3f08b237, v42 :: v_dual_sub_f32 v3, v3, v48
	v_mul_f32_e32 v28, 0x3d64c772, v28
	s_delay_alu instid0(VALU_DEP_4) | instskip(SKIP_3) | instid1(VALU_DEP_4)
	v_add_f32_e32 v20, v34, v20
	v_add_f32_e32 v36, v11, v29
	v_mul_f32_e32 v42, 0xbf5ff5aa, v30
	v_fma_f32 v30, 0xbf5ff5aa, v30, -v40
	v_dual_sub_f32 v39, v29, v11 :: v_dual_fmamk_f32 v34, v34, 0xbf955555, v20
	s_delay_alu instid0(VALU_DEP_4) | instskip(SKIP_1) | instid1(VALU_DEP_4)
	v_add_f32_e32 v35, v36, v37
	v_mul_f32_e32 v36, 0x3f4a47b2, v9
	v_fmac_f32_e32 v30, 0xbee1c552, v26
	v_fmamk_f32 v9, v9, 0x3f4a47b2, v28
	v_fma_f32 v28, 0x3f3bfb3b, v38, -v28
	v_sub_f32_e32 v29, v37, v29
	v_fma_f32 v36, 0xbf3bfb3b, v38, -v36
	v_fmamk_f32 v38, v31, 0xbeae86e6, v40
	v_dual_sub_f32 v11, v11, v37 :: v_dual_add_f32 v40, v9, v34
	s_delay_alu instid0(VALU_DEP_4) | instskip(NEXT) | instid1(VALU_DEP_3)
	v_dual_add_f32 v28, v28, v34 :: v_dual_mul_f32 v29, 0x3d64c772, v29
	v_dual_fmac_f32 v38, 0xbee1c552, v26 :: v_dual_add_f32 v21, v35, v21
	v_dual_add_f32 v41, v33, v32 :: v_dual_add_f32 v34, v36, v34
	s_delay_alu instid0(VALU_DEP_4) | instskip(NEXT) | instid1(VALU_DEP_3)
	v_dual_sub_f32 v48, v32, v33 :: v_dual_mul_f32 v37, 0x3f4a47b2, v11
	v_fmamk_f32 v35, v35, 0xbf955555, v21
	v_fmamk_f32 v11, v11, 0x3f4a47b2, v29
	v_fma_f32 v29, 0x3f3bfb3b, v39, -v29
	v_sub_f32_e32 v32, v27, v32
	v_fma_f32 v37, 0xbf3bfb3b, v39, -v37
	v_fma_f32 v31, 0x3eae86e6, v31, -v42
	v_lshlrev_b32_e32 v9, 2, v1
	v_add_f32_e32 v29, v29, v35
	v_sub_f32_e32 v33, v33, v27
	v_add_f32_e32 v27, v27, v41
	v_mul_f32_e32 v41, 0x3f08b237, v48
	s_delay_alu instid0(VALU_DEP_4) | instskip(NEXT) | instid1(VALU_DEP_4)
	v_dual_fmac_f32 v31, 0xbee1c552, v26 :: v_dual_add_f32 v42, v30, v29
	v_mul_f32_e32 v48, 0xbf5ff5aa, v33
	s_delay_alu instid0(VALU_DEP_3) | instskip(NEXT) | instid1(VALU_DEP_2)
	v_fmamk_f32 v39, v32, 0xbeae86e6, v41
	v_fma_f32 v32, 0x3eae86e6, v32, -v48
	v_sub_f32_e32 v48, v29, v30
	v_fma_f32 v33, 0xbf5ff5aa, v33, -v41
	s_delay_alu instid0(VALU_DEP_4) | instskip(SKIP_1) | instid1(VALU_DEP_2)
	v_fmac_f32_e32 v39, 0xbee1c552, v27
	v_add_f32_e32 v41, v11, v35
	v_dual_add_f32 v26, v40, v39 :: v_dual_add_nc_u32 v11, 0, v9
	s_delay_alu instid0(VALU_DEP_4) | instskip(SKIP_1) | instid1(VALU_DEP_3)
	v_fmac_f32_e32 v33, 0xbee1c552, v27
	v_fmac_f32_e32 v32, 0xbee1c552, v27
	v_mad_u32_u24 v64, v4, 28, v11
	v_sub_f32_e32 v30, v40, v39
	v_mad_i32_i24 v39, v19, 28, v11
	v_sub_f32_e32 v27, v28, v33
	v_dual_add_f32 v1, v34, v32 :: v_dual_add_f32 v28, v28, v33
	v_sub_f32_e32 v29, v34, v32
	ds_store_2addr_b32 v64, v25, v13 offset1:1
	ds_store_2addr_b32 v64, v46, v61 offset0:2 offset1:3
	ds_store_2addr_b32 v64, v23, v24 offset0:4 offset1:5
	ds_store_b32 v64, v3 offset:24
	ds_store_2addr_b32 v39, v20, v26 offset1:1
	ds_store_2addr_b32 v39, v1, v27 offset0:2 offset1:3
	ds_store_2addr_b32 v39, v28, v29 offset0:4 offset1:5
	ds_store_b32 v39, v30 offset:24
	v_and_b32_e32 v20, 0xff, v19
	v_lshlrev_b32_e32 v13, 2, v4
	v_mad_i32_i24 v3, 0xffffffe8, v4, v64
	v_lshl_add_u32 v32, v8, 2, v11
	v_mad_i32_i24 v30, 0xffffffe8, v19, v39
	v_mul_lo_u16 v23, v20, 37
	v_add_nc_u32_e32 v1, v11, v13
	v_lshl_add_u32 v33, v10, 2, v11
	v_lshl_add_u32 v34, v12, 2, v11
	global_wb scope:SCOPE_SE
	s_wait_dscnt 0x0
	v_lshrrev_b16 v23, 8, v23
	s_barrier_signal -1
	s_barrier_wait -1
	global_inv scope:SCOPE_SE
	ds_load_b32 v70, v1
	ds_load_2addr_b32 v[24:25], v3 offset0:112 offset1:128
	v_sub_nc_u16 v40, v19, v23
	ds_load_2addr_b32 v[26:27], v3 offset0:144 offset1:160
	ds_load_2addr_b32 v[28:29], v3 offset0:176 offset1:192
	v_lshrrev_b16 v20, 1, v20
	v_lshrrev_b16 v40, 1, v40
	s_delay_alu instid0(VALU_DEP_2) | instskip(NEXT) | instid1(VALU_DEP_2)
	v_mul_lo_u16 v20, 0x93, v20
	v_and_b32_e32 v40, 0x7f, v40
	v_sub_f32_e32 v36, v41, v38
	v_add_f32_e32 v38, v38, v41
	v_mul_lo_u16 v41, v4, 37
	v_add_f32_e32 v35, v37, v35
	v_add_nc_u16 v23, v40, v23
	s_delay_alu instid0(VALU_DEP_3) | instskip(NEXT) | instid1(VALU_DEP_3)
	v_lshrrev_b16 v66, 8, v41
	v_sub_f32_e32 v37, v35, v31
	s_delay_alu instid0(VALU_DEP_3)
	v_lshrrev_b16 v78, 2, v23
	v_add_f32_e32 v65, v31, v35
	v_lshl_add_u32 v31, v22, 2, v11
	v_mul_lo_u16 v23, v66, 7
	v_lshl_add_u32 v35, v14, 2, v11
	v_mul_lo_u16 v40, v78, 7
	ds_load_b32 v71, v32
	ds_load_b32 v72, v33
	;; [unrolled: 1-line block ×6, first 2 shown]
	ds_load_b32 v77, v3 offset:832
	global_wb scope:SCOPE_SE
	s_wait_dscnt 0x0
	s_barrier_signal -1
	s_barrier_wait -1
	global_inv scope:SCOPE_SE
	ds_store_2addr_b32 v64, v45, v44 offset1:1
	ds_store_2addr_b32 v64, v60, v62 offset0:2 offset1:3
	ds_store_2addr_b32 v64, v63, v43 offset0:4 offset1:5
	ds_store_b32 v64, v47 offset:24
	ds_store_2addr_b32 v39, v21, v36 offset1:1
	ds_store_2addr_b32 v39, v37, v42 offset0:2 offset1:3
	ds_store_2addr_b32 v39, v48, v65 offset0:4 offset1:5
	ds_store_b32 v39, v38 offset:24
	v_sub_nc_u16 v21, v4, v23
	v_sub_nc_u16 v23, v19, v40
	v_and_b32_e32 v36, 0xff, v10
	v_and_b32_e32 v37, 0xff, v12
	;; [unrolled: 1-line block ×7, first 2 shown]
	v_mul_lo_u16 v43, v36, 37
	v_mul_lo_u16 v44, v37, 37
	;; [unrolled: 1-line block ×5, first 2 shown]
	v_lshrrev_b16 v43, 8, v43
	v_lshrrev_b16 v44, 8, v44
	;; [unrolled: 1-line block ×5, first 2 shown]
	v_sub_nc_u16 v48, v10, v43
	v_sub_nc_u16 v60, v12, v44
	;; [unrolled: 1-line block ×5, first 2 shown]
	v_lshrrev_b16 v48, 1, v48
	v_lshrrev_b16 v60, 1, v60
	;; [unrolled: 1-line block ×5, first 2 shown]
	v_lshlrev_b32_e32 v39, 3, v64
	global_wb scope:SCOPE_SE
	s_wait_dscnt 0x0
	v_and_b32_e32 v46, 0x7f, v46
	s_barrier_signal -1
	v_and_b32_e32 v47, 0x7f, v47
	s_barrier_wait -1
	global_inv scope:SCOPE_SE
	v_add_nc_u16 v40, v46, v40
	v_and_b32_e32 v46, 0x7f, v48
	v_add_nc_u16 v42, v47, v42
	v_and_b32_e32 v47, 0x7f, v60
	v_and_b32_e32 v48, 0x7f, v61
	v_lshrrev_b16 v80, 2, v40
	v_add_nc_u16 v43, v46, v43
	v_lshrrev_b16 v81, 2, v42
	v_add_nc_u16 v42, v47, v44
	v_add_nc_u16 v44, v48, v45
	v_mul_lo_u16 v45, v80, 7
	v_lshrrev_b16 v82, 2, v43
	global_load_b64 v[39:40], v39, s[4:5]
	v_lshrrev_b16 v83, 2, v42
	v_mul_lo_u16 v42, v81, 7
	v_lshrrev_b16 v84, 2, v44
	v_sub_nc_u16 v43, v22, v45
	v_mul_lo_u16 v44, v82, 7
	v_mul_lo_u16 v45, v83, 7
	v_sub_nc_u16 v42, v8, v42
	v_mul_lo_u16 v46, v84, 7
	v_and_b32_e32 v85, 0xff, v43
	v_sub_nc_u16 v43, v10, v44
	v_lshlrev_b32_e32 v41, 3, v79
	v_sub_nc_u16 v44, v12, v45
	v_and_b32_e32 v86, 0xff, v42
	v_sub_nc_u16 v42, v14, v46
	v_and_b32_e32 v87, 0xff, v43
	v_lshlrev_b32_e32 v45, 3, v85
	v_and_b32_e32 v65, 0xffff, v66
	v_lshlrev_b32_e32 v46, 3, v86
	v_and_b32_e32 v89, 0xff, v42
	global_load_b64 v[41:42], v41, s[4:5]
	v_and_b32_e32 v88, 0xff, v44
	v_lshlrev_b32_e32 v47, 3, v87
	global_load_b64 v[43:44], v45, s[4:5]
	v_lshlrev_b32_e32 v62, 3, v89
	global_load_b64 v[45:46], v46, s[4:5]
	v_lshlrev_b32_e32 v60, 3, v88
	s_clause 0x2
	global_load_b64 v[47:48], v47, s[4:5]
	global_load_b64 v[60:61], v60, s[4:5]
	global_load_b64 v[62:63], v62, s[4:5]
	v_mad_u32_u24 v65, v65, 56, 0
	v_lshlrev_b32_e32 v64, 2, v64
	v_and_b32_e32 v80, 0xffff, v80
	v_and_b32_e32 v81, 0xffff, v81
	v_lshlrev_b32_e32 v79, 2, v79
	v_lshlrev_b32_e32 v85, 2, v85
	v_add3_u32 v90, v65, v64, v9
	ds_load_2addr_b32 v[64:65], v3 offset0:112 offset1:128
	ds_load_b32 v91, v1
	ds_load_2addr_b32 v[66:67], v3 offset0:144 offset1:160
	ds_load_2addr_b32 v[68:69], v3 offset0:176 offset1:192
	ds_load_b32 v92, v32
	ds_load_b32 v93, v33
	;; [unrolled: 1-line block ×6, first 2 shown]
	ds_load_b32 v98, v3 offset:832
	v_and_b32_e32 v82, 0xffff, v82
	v_mad_u32_u24 v80, v80, 56, 0
	v_mad_u32_u24 v81, v81, 56, 0
	v_lshlrev_b32_e32 v87, 2, v87
	v_and_b32_e32 v84, 0xffff, v84
	v_lshlrev_b32_e32 v89, 2, v89
	global_wb scope:SCOPE_SE
	s_wait_loadcnt_dscnt 0x0
	s_barrier_signal -1
	s_barrier_wait -1
	global_inv scope:SCOPE_SE
	v_mul_f32_e32 v99, v64, v40
	v_mul_f32_e32 v40, v24, v40
	s_delay_alu instid0(VALU_DEP_2) | instskip(SKIP_1) | instid1(VALU_DEP_3)
	v_dual_fmac_f32 v99, v24, v39 :: v_dual_lshlrev_b32 v86, 2, v86
	v_and_b32_e32 v78, 0xffff, v78
	v_fma_f32 v24, v64, v39, -v40
	s_delay_alu instid0(VALU_DEP_3) | instskip(NEXT) | instid1(VALU_DEP_3)
	v_dual_sub_f32 v39, v70, v99 :: v_dual_lshlrev_b32 v88, 2, v88
	v_mad_u32_u24 v78, v78, 56, 0
	s_delay_alu instid0(VALU_DEP_1) | instskip(SKIP_4) | instid1(VALU_DEP_1)
	v_add3_u32 v78, v78, v79, v9
	v_add3_u32 v79, v80, v85, v9
	;; [unrolled: 1-line block ×3, first 2 shown]
	v_add_nc_u32_e32 v86, -12, v4
	v_mul_f32_e32 v40, v66, v44
	v_dual_fmac_f32 v40, v26, v43 :: v_dual_mul_f32 v85, v69, v61
	v_mad_u32_u24 v82, v82, 56, 0
	v_mul_f32_e32 v61, v29, v61
	v_mad_u32_u24 v84, v84, 56, 0
	s_delay_alu instid0(VALU_DEP_4) | instskip(NEXT) | instid1(VALU_DEP_4)
	v_fmac_f32_e32 v85, v29, v60
	v_add3_u32 v81, v82, v87, v9
	v_sub_f32_e32 v82, v91, v24
	v_fma_f32 v24, v70, 2.0, -v39
	v_add3_u32 v70, v84, v89, v9
	v_mul_f32_e32 v84, v68, v48
	v_mul_f32_e32 v48, v28, v48
	v_fma_f32 v29, v69, v60, -v61
	ds_store_2addr_b32 v90, v24, v39 offset1:7
	v_mul_f32_e32 v24, v65, v42
	v_dual_mul_f32 v39, v25, v42 :: v_dual_mul_f32 v42, v26, v44
	v_mul_f32_e32 v44, v67, v46
	v_mul_f32_e32 v46, v27, v46
	s_delay_alu instid0(VALU_DEP_4)
	v_dual_fmac_f32 v24, v25, v41 :: v_dual_mul_f32 v25, v98, v63
	v_and_b32_e32 v83, 0xffff, v83
	v_mul_f32_e32 v63, v77, v63
	v_fma_f32 v39, v65, v41, -v39
	v_fma_f32 v26, v66, v43, -v42
	v_fmac_f32_e32 v44, v27, v45
	v_fma_f32 v27, v67, v45, -v46
	v_fmac_f32_e32 v84, v28, v47
	;; [unrolled: 2-line block ×3, first 2 shown]
	v_fma_f32 v41, v98, v62, -v63
	v_dual_sub_f32 v24, v76, v24 :: v_dual_sub_f32 v47, v97, v39
	v_sub_f32_e32 v62, v94, v29
	v_mad_u32_u24 v83, v83, 56, 0
	v_dual_sub_f32 v39, v75, v40 :: v_dual_sub_f32 v48, v96, v26
	v_sub_f32_e32 v26, v71, v44
	v_sub_f32_e32 v60, v92, v27
	;; [unrolled: 1-line block ×6, first 2 shown]
	v_add3_u32 v64, v83, v88, v9
	v_fma_f32 v83, v91, 2.0, -v82
	v_sub_f32_e32 v63, v95, v41
	v_fma_f32 v29, v76, 2.0, -v24
	v_fma_f32 v65, v97, 2.0, -v47
	;; [unrolled: 1-line block ×12, first 2 shown]
	ds_store_2addr_b32 v78, v29, v24 offset1:7
	ds_store_2addr_b32 v79, v40, v39 offset1:7
	;; [unrolled: 1-line block ×6, first 2 shown]
	global_wb scope:SCOPE_SE
	s_wait_dscnt 0x0
	s_barrier_signal -1
	s_barrier_wait -1
	global_inv scope:SCOPE_SE
	ds_load_b32 v39, v1
	ds_load_2addr_b32 v[28:29], v3 offset0:112 offset1:128
	ds_load_2addr_b32 v[26:27], v3 offset0:144 offset1:160
	;; [unrolled: 1-line block ×3, first 2 shown]
	ds_load_b32 v43, v32
	ds_load_b32 v42, v33
	;; [unrolled: 1-line block ×6, first 2 shown]
	ds_load_b32 v46, v3 offset:832
	global_wb scope:SCOPE_SE
	s_wait_dscnt 0x0
	s_barrier_signal -1
	s_barrier_wait -1
	global_inv scope:SCOPE_SE
	ds_store_2addr_b32 v90, v83, v82 offset1:7
	ds_store_2addr_b32 v78, v65, v47 offset1:7
	ds_store_2addr_b32 v79, v66, v48 offset1:7
	ds_store_2addr_b32 v80, v67, v60 offset1:7
	ds_store_2addr_b32 v81, v68, v61 offset1:7
	v_lshrrev_b16 v60, 1, v21
	ds_store_2addr_b32 v64, v69, v62 offset1:7
	ds_store_2addr_b32 v70, v71, v63 offset1:7
	v_lshrrev_b16 v63, 1, v23
	v_lshrrev_b16 v48, 10, v20
	v_mul_lo_u16 v62, 0x93, v60
	v_dual_mov_b32 v21, 0 :: v_dual_add_nc_u32 v20, -14, v4
	v_lshrrev_b16 v66, 1, v38
	s_delay_alu instid0(VALU_DEP_4) | instskip(NEXT) | instid1(VALU_DEP_4)
	v_mul_lo_u16 v47, v48, 14
	v_lshrrev_b16 v76, 10, v62
	v_mul_lo_u16 v62, 0x93, v63
	v_lshrrev_b16 v63, 1, v36
	s_wait_alu 0xf1ff
	v_cndmask_b32_e64 v20, v20, v4, s0
	v_sub_nc_u16 v47, v19, v47
	v_mul_lo_u16 v65, v76, 14
	v_lshrrev_b16 v77, 10, v62
	v_lshrrev_b16 v62, 1, v37
	v_mul_lo_u16 v63, 0x93, v63
	v_lshlrev_b64_e32 v[60:61], 3, v[20:21]
	v_and_b32_e32 v47, 0xff, v47
	v_sub_nc_u16 v22, v22, v65
	v_mul_lo_u16 v62, 0x93, v62
	v_lshrrev_b16 v78, 10, v63
	v_mul_lo_u16 v67, v77, 14
	v_add_co_u32 v60, s0, s4, v60
	s_delay_alu instid0(VALU_DEP_4)
	v_lshrrev_b16 v79, 10, v62
	s_wait_alu 0xf1ff
	v_add_co_ci_u32_e64 v61, s0, s5, v61, s0
	v_lshlrev_b32_e32 v64, 3, v47
	v_mul_lo_u16 v63, 0x93, v66
	v_and_b32_e32 v80, 0xff, v22
	v_mul_lo_u16 v22, v78, 14
	v_mul_lo_u16 v62, v79, 14
	v_sub_nc_u16 v65, v8, v67
	global_wb scope:SCOPE_SE
	s_wait_dscnt 0x0
	s_barrier_signal -1
	s_barrier_wait -1
	global_inv scope:SCOPE_SE
	v_lshrrev_b16 v81, 10, v63
	v_sub_nc_u16 v22, v10, v22
	global_load_b64 v[60:61], v[60:61], off offset:56
	v_sub_nc_u16 v67, v12, v62
	global_load_b64 v[62:63], v64, s[4:5] offset:56
	v_and_b32_e32 v82, 0xff, v65
	v_lshlrev_b32_e32 v65, 3, v80
	v_mul_lo_u16 v66, v81, 14
	v_and_b32_e32 v83, 0xff, v22
	v_and_b32_e32 v84, 0xff, v67
	v_lshlrev_b32_e32 v68, 3, v82
	v_cmp_lt_u32_e64 s0, 13, v4
	v_sub_nc_u16 v22, v14, v66
	s_clause 0x1
	global_load_b64 v[64:65], v65, s[4:5] offset:56
	global_load_b64 v[66:67], v68, s[4:5] offset:56
	v_lshlrev_b32_e32 v68, 3, v83
	v_lshlrev_b64_e32 v[74:75], 3, v[4:5]
	v_and_b32_e32 v85, 0xff, v22
	v_lshlrev_b32_e32 v22, 3, v84
	v_lshrrev_b16 v87, 2, v23
	global_load_b64 v[68:69], v68, s[4:5] offset:56
	v_lshrrev_b16 v36, 2, v36
	v_lshlrev_b32_e32 v72, 3, v85
	s_clause 0x1
	global_load_b64 v[70:71], v22, s[4:5] offset:56
	global_load_b64 v[72:73], v72, s[4:5] offset:56
	s_wait_alu 0xf1ff
	v_cndmask_b32_e64 v22, 0, 0x70, s0
	v_lshrrev_b16 v38, 2, v38
	v_lshrrev_b16 v37, 2, v37
	v_and_b32_e32 v48, 0xffff, v48
	v_and_b32_e32 v76, 0xffff, v76
	v_add_nc_u32_e32 v88, 0, v22
	v_add_co_u32 v22, s0, s4, v74
	s_wait_alu 0xf1ff
	v_add_co_ci_u32_e64 v23, s0, s5, v75, s0
	v_cmp_gt_u32_e64 s0, 28, v19
	v_lshlrev_b32_e32 v74, 2, v20
	v_mul_lo_u16 v75, v87, 37
	v_mul_lo_u16 v38, v38, 37
	;; [unrolled: 1-line block ×3, first 2 shown]
	s_wait_alu 0xf1ff
	v_cndmask_b32_e64 v20, v86, v19, s0
	v_mul_lo_u16 v86, v36, 37
	v_add3_u32 v88, v88, v74, v9
	v_lshrrev_b16 v89, 8, v75
	v_lshrrev_b16 v38, 8, v38
	v_lshlrev_b64_e32 v[36:37], 3, v[20:21]
	v_lshrrev_b16 v74, 8, v86
	v_lshrrev_b16 v86, 8, v87
	v_mul_lo_u16 v87, v89, 28
	v_mul_lo_u16 v38, v38, 28
	v_mad_u32_u24 v92, 0x70, v48, 0
	v_mul_lo_u16 v90, v74, 28
	v_add_co_u32 v74, s0, s4, v36
	v_sub_nc_u16 v36, v8, v87
	v_sub_nc_u16 v38, v14, v38
	s_delay_alu instid0(VALU_DEP_4)
	v_sub_nc_u16 v48, v10, v90
	s_wait_alu 0xf1ff
	v_add_co_ci_u32_e64 v75, s0, s5, v37, s0
	v_and_b32_e32 v37, 0xff, v36
	v_and_b32_e32 v90, 0xff, v38
	;; [unrolled: 1-line block ×3, first 2 shown]
	v_lshlrev_b32_e32 v38, 2, v47
	ds_load_2addr_b32 v[47:48], v3 offset0:112 offset1:128
	v_and_b32_e32 v81, 0xffff, v81
	v_lshlrev_b32_e32 v80, 2, v80
	v_lshlrev_b32_e32 v82, 2, v82
	;; [unrolled: 1-line block ×4, first 2 shown]
	v_mad_u32_u24 v81, 0x70, v81, 0
	v_lshlrev_b32_e32 v85, 2, v85
	v_mul_lo_u16 v91, v86, 28
	v_cmp_lt_u32_e64 s0, 27, v19
	v_add3_u32 v13, 0, v13, v9
	s_delay_alu instid0(VALU_DEP_4) | instskip(NEXT) | instid1(VALU_DEP_4)
	v_add3_u32 v81, v81, v85, v9
	v_sub_nc_u16 v87, v12, v91
	s_wait_alu 0xf1ff
	v_cndmask_b32_e64 v19, 0, 0xe0, s0
	s_wait_loadcnt_dscnt 0x600
	v_mul_f32_e32 v99, v47, v61
	v_mul_f32_e32 v61, v28, v61
	s_wait_loadcnt 0x5
	v_mul_f32_e32 v100, v48, v63
	s_delay_alu instid0(VALU_DEP_3) | instskip(NEXT) | instid1(VALU_DEP_3)
	v_dual_fmac_f32 v99, v28, v60 :: v_dual_and_b32 v78, 0xffff, v78
	v_fma_f32 v28, v47, v60, -v61
	s_delay_alu instid0(VALU_DEP_3) | instskip(SKIP_1) | instid1(VALU_DEP_4)
	v_dual_fmac_f32 v100, v29, v62 :: v_dual_and_b32 v77, 0xffff, v77
	v_and_b32_e32 v79, 0xffff, v79
	v_mad_u32_u24 v78, 0x70, v78, 0
	v_mul_f32_e32 v47, v29, v63
	v_mad_u32_u24 v76, 0x70, v76, 0
	v_mad_u32_u24 v77, 0x70, v77, 0
	;; [unrolled: 1-line block ×3, first 2 shown]
	v_add3_u32 v83, v78, v83, v9
	s_wait_loadcnt 0x4
	v_mul_f32_e32 v29, v26, v65
	v_add3_u32 v80, v76, v80, v9
	v_add3_u32 v82, v77, v82, v9
	;; [unrolled: 1-line block ×3, first 2 shown]
	s_wait_loadcnt 0x2
	v_mul_f32_e32 v63, v24, v69
	v_add3_u32 v38, v92, v38, v9
	ds_load_2addr_b32 v[76:77], v3 offset0:144 offset1:160
	ds_load_2addr_b32 v[78:79], v3 offset0:176 offset1:192
	ds_load_b32 v85, v1
	ds_load_b32 v92, v3 offset:832
	ds_load_b32 v93, v32
	ds_load_b32 v94, v33
	;; [unrolled: 1-line block ×6, first 2 shown]
	v_fma_f32 v47, v48, v62, -v47
	v_mul_f32_e32 v48, v27, v67
	global_wb scope:SCOPE_SE
	s_wait_loadcnt_dscnt 0x0
	s_barrier_signal -1
	s_barrier_wait -1
	global_inv scope:SCOPE_SE
	v_dual_mul_f32 v60, v76, v65 :: v_dual_mul_f32 v61, v77, v67
	v_dual_mul_f32 v62, v78, v69 :: v_dual_mul_f32 v65, v79, v71
	v_fma_f32 v48, v77, v66, -v48
	s_delay_alu instid0(VALU_DEP_3)
	v_fmac_f32_e32 v60, v26, v64
	v_fma_f32 v26, v76, v64, -v29
	v_dual_mul_f32 v29, v25, v71 :: v_dual_mul_f32 v64, v92, v73
	v_fmac_f32_e32 v61, v27, v66
	v_dual_mul_f32 v27, v46, v73 :: v_dual_fmac_f32 v62, v24, v68
	v_fma_f32 v24, v78, v68, -v63
	v_dual_sub_f32 v48, v93, v48 :: v_dual_and_b32 v87, 0xff, v87
	v_fmac_f32_e32 v65, v25, v70
	v_fma_f32 v25, v79, v70, -v29
	v_fmac_f32_e32 v64, v46, v72
	v_fma_f32 v27, v92, v72, -v27
	v_dual_sub_f32 v29, v39, v99 :: v_dual_sub_f32 v46, v85, v28
	v_dual_sub_f32 v28, v45, v100 :: v_dual_sub_f32 v47, v98, v47
	;; [unrolled: 1-line block ×4, first 2 shown]
	v_sub_f32_e32 v62, v94, v24
	v_sub_f32_e32 v24, v41, v65
	;; [unrolled: 1-line block ×5, first 2 shown]
	v_fma_f32 v27, v39, 2.0, -v29
	v_fma_f32 v39, v85, 2.0, -v46
	;; [unrolled: 1-line block ×14, first 2 shown]
	ds_store_2addr_b32 v88, v27, v29 offset1:14
	ds_store_2addr_b32 v38, v45, v28 offset1:14
	;; [unrolled: 1-line block ×7, first 2 shown]
	global_wb scope:SCOPE_SE
	s_wait_dscnt 0x0
	s_barrier_signal -1
	s_barrier_wait -1
	global_inv scope:SCOPE_SE
	ds_load_b32 v72, v1
	ds_load_2addr_b32 v[24:25], v3 offset0:112 offset1:128
	ds_load_2addr_b32 v[26:27], v3 offset0:144 offset1:160
	ds_load_2addr_b32 v[28:29], v3 offset0:176 offset1:192
	ds_load_b32 v73, v32
	ds_load_b32 v76, v33
	;; [unrolled: 1-line block ×6, first 2 shown]
	ds_load_b32 v92, v3 offset:832
	global_wb scope:SCOPE_SE
	s_wait_dscnt 0x0
	s_barrier_signal -1
	s_barrier_wait -1
	global_inv scope:SCOPE_SE
	ds_store_2addr_b32 v88, v39, v46 offset1:14
	ds_store_2addr_b32 v38, v66, v47 offset1:14
	;; [unrolled: 1-line block ×7, first 2 shown]
	v_lshlrev_b32_e32 v46, 3, v36
	v_lshlrev_b32_e32 v91, 3, v37
	;; [unrolled: 1-line block ×4, first 2 shown]
	global_wb scope:SCOPE_SE
	s_wait_dscnt 0x0
	s_barrier_signal -1
	s_barrier_wait -1
	global_inv scope:SCOPE_SE
	s_clause 0x6
	global_load_b64 v[38:39], v[22:23], off offset:168
	global_load_b64 v[40:41], v[74:75], off offset:168
	global_load_b64 v[42:43], v91, s[4:5] offset:168
	global_load_b64 v[44:45], v[22:23], off offset:200
	global_load_b64 v[46:47], v46, s[4:5] offset:168
	global_load_b64 v[60:61], v48, s[4:5] offset:168
	;; [unrolled: 1-line block ×3, first 2 shown]
	v_add_nc_u32_e32 v48, 0, v19
	v_lshlrev_b32_e32 v66, 2, v20
	v_and_b32_e32 v67, 0xffff, v86
	v_lshlrev_b32_e32 v71, 2, v37
	v_lshlrev_b32_e32 v74, 2, v87
	v_lshl_add_u32 v75, v36, 2, v11
	v_add3_u32 v48, v48, v66, v9
	v_mad_u32_u24 v70, 0xe0, v67, 0
	ds_load_2addr_b32 v[66:67], v3 offset0:112 offset1:128
	ds_load_2addr_b32 v[36:37], v3 offset0:144 offset1:160
	ds_load_b32 v80, v1
	ds_load_2addr_b32 v[68:69], v3 offset0:176 offset1:192
	ds_load_b32 v81, v32
	ds_load_b32 v82, v33
	ds_load_b32 v83, v34
	ds_load_b32 v84, v35
	ds_load_b32 v86, v31
	ds_load_b32 v87, v30
	ds_load_b32 v88, v3 offset:832
	v_lshlrev_b64_e32 v[64:65], 3, v[15:16]
	v_add_co_u32 v16, s0, s4, v17
	s_wait_alu 0xf1ff
	v_add_co_ci_u32_e64 v17, s0, s5, v18, s0
	v_add_nc_u32_e32 v15, -8, v4
	v_cmp_gt_u32_e64 s0, 56, v8
	v_add3_u32 v70, v70, v74, v9
	v_lshl_add_u32 v11, v90, 2, v11
	global_wb scope:SCOPE_SE
	s_wait_loadcnt_dscnt 0x0
	s_barrier_signal -1
	s_barrier_wait -1
	global_inv scope:SCOPE_SE
	v_mul_f32_e32 v74, v67, v41
	v_mul_f32_e32 v90, v37, v43
	v_dual_mul_f32 v93, v69, v61 :: v_dual_mul_f32 v94, v88, v63
	s_wait_alu 0xf1ff
	v_cndmask_b32_e64 v20, v15, v8, s0
	v_dual_fmac_f32 v74, v25, v40 :: v_dual_and_b32 v15, 0xffff, v89
	v_dual_fmac_f32 v90, v27, v42 :: v_dual_mul_f32 v89, v36, v45
	v_mul_f32_e32 v45, v26, v45
	s_delay_alu instid0(VALU_DEP_3)
	v_mad_u32_u24 v15, 0xe0, v15, 0
	v_fmac_f32_e32 v93, v29, v60
	v_mul_f32_e32 v91, v68, v47
	v_mul_f32_e32 v47, v28, v47
	v_fmac_f32_e32 v89, v26, v44
	v_add3_u32 v15, v15, v71, v9
	v_dual_mul_f32 v71, v66, v39 :: v_dual_fmac_f32 v94, v92, v62
	v_mul_f32_e32 v39, v24, v39
	v_fma_f32 v26, v36, v44, -v45
	v_mul_f32_e32 v41, v25, v41
	v_fmac_f32_e32 v91, v28, v46
	v_fma_f32 v28, v68, v46, -v47
	v_mul_f32_e32 v43, v27, v43
	v_mul_f32_e32 v61, v29, v61
	;; [unrolled: 1-line block ×3, first 2 shown]
	v_fmac_f32_e32 v71, v24, v38
	v_fma_f32 v24, v66, v38, -v39
	v_fma_f32 v25, v67, v40, -v41
	;; [unrolled: 1-line block ×5, first 2 shown]
	v_sub_f32_e32 v37, v72, v71
	v_sub_f32_e32 v38, v80, v24
	v_dual_sub_f32 v24, v85, v74 :: v_dual_sub_f32 v39, v87, v25
	v_add_co_u32 v18, s0, s4, v64
	v_dual_sub_f32 v25, v79, v89 :: v_dual_sub_f32 v40, v86, v26
	v_sub_f32_e32 v26, v73, v90
	v_sub_f32_e32 v41, v81, v27
	s_wait_alu 0xf1ff
	v_add_co_ci_u32_e64 v19, s0, s5, v65, s0
	v_lshlrev_b64_e32 v[64:65], 3, v[20:21]
	v_dual_sub_f32 v27, v76, v91 :: v_dual_sub_f32 v42, v82, v28
	v_sub_f32_e32 v28, v77, v93
	v_sub_f32_e32 v43, v83, v29
	v_dual_sub_f32 v29, v78, v94 :: v_dual_sub_f32 v36, v84, v36
	v_fma_f32 v44, v72, 2.0, -v37
	v_fma_f32 v45, v80, 2.0, -v38
	;; [unrolled: 1-line block ×14, first 2 shown]
	ds_store_2addr_b32 v3, v44, v37 offset1:28
	ds_store_2addr_b32 v48, v46, v24 offset1:28
	ds_store_2addr_b32 v13, v60, v25 offset0:60 offset1:88
	ds_store_2addr_b32 v15, v62, v26 offset1:28
	ds_store_2addr_b32 v75, v66, v27 offset0:112 offset1:140
	;; [unrolled: 2-line block ×3, first 2 shown]
	global_wb scope:SCOPE_SE
	s_wait_dscnt 0x0
	s_barrier_signal -1
	s_barrier_wait -1
	global_inv scope:SCOPE_SE
	ds_load_b32 v68, v1
	ds_load_2addr_b32 v[24:25], v3 offset0:112 offset1:128
	ds_load_2addr_b32 v[26:27], v3 offset0:144 offset1:160
	;; [unrolled: 1-line block ×3, first 2 shown]
	ds_load_b32 v71, v32
	ds_load_b32 v73, v33
	;; [unrolled: 1-line block ×6, first 2 shown]
	ds_load_b32 v79, v3 offset:832
	global_wb scope:SCOPE_SE
	s_wait_dscnt 0x0
	s_barrier_signal -1
	s_barrier_wait -1
	global_inv scope:SCOPE_SE
	ds_store_2addr_b32 v3, v45, v38 offset1:28
	ds_store_2addr_b32 v48, v47, v39 offset1:28
	ds_store_2addr_b32 v13, v61, v40 offset0:60 offset1:88
	ds_store_2addr_b32 v15, v63, v41 offset1:28
	ds_store_2addr_b32 v75, v67, v42 offset0:112 offset1:140
	ds_store_2addr_b32 v70, v69, v43 offset1:28
	ds_store_2addr_b32 v11, v72, v36 offset0:168 offset1:196
	v_add_co_u32 v38, s0, s4, v64
	s_wait_alu 0xf1ff
	v_add_co_ci_u32_e64 v39, s0, s5, v65, s0
	global_wb scope:SCOPE_SE
	s_wait_dscnt 0x0
	s_barrier_signal -1
	s_barrier_wait -1
	global_inv scope:SCOPE_SE
	s_clause 0x6
	global_load_b64 v[36:37], v[22:23], off offset:392
	global_load_b64 v[40:41], v[16:17], off offset:392
	;; [unrolled: 1-line block ×7, first 2 shown]
	v_cmp_lt_u32_e64 s0, 55, v8
	ds_load_2addr_b32 v[64:65], v3 offset0:144 offset1:160
	ds_load_2addr_b32 v[62:63], v3 offset0:112 offset1:128
	v_lshlrev_b32_e32 v15, 2, v20
	s_wait_alu 0xf1ff
	v_cndmask_b32_e64 v11, 0, 0x1c0, s0
	s_delay_alu instid0(VALU_DEP_1) | instskip(NEXT) | instid1(VALU_DEP_1)
	v_add_nc_u32_e32 v11, 0, v11
	v_add3_u32 v9, v11, v15, v9
	ds_load_2addr_b32 v[66:67], v3 offset0:176 offset1:192
	ds_load_b32 v11, v3 offset:832
	ds_load_b32 v15, v32
	ds_load_b32 v48, v33
	;; [unrolled: 1-line block ×7, first 2 shown]
	global_wb scope:SCOPE_SE
	s_wait_loadcnt_dscnt 0x0
	s_barrier_signal -1
	s_barrier_wait -1
	global_inv scope:SCOPE_SE
	v_mul_f32_e32 v81, v63, v41
	v_mul_f32_e32 v41, v25, v41
	;; [unrolled: 1-line block ×3, first 2 shown]
	v_dual_mul_f32 v39, v27, v39 :: v_dual_mul_f32 v80, v62, v37
	v_mul_f32_e32 v85, v67, v47
	v_mul_f32_e32 v47, v29, v47
	s_delay_alu instid0(VALU_DEP_4) | instskip(NEXT) | instid1(VALU_DEP_4)
	v_fmac_f32_e32 v83, v27, v38
	v_fma_f32 v27, v65, v38, -v39
	v_mul_f32_e32 v37, v24, v37
	v_mul_f32_e32 v82, v64, v43
	;; [unrolled: 1-line block ×6, first 2 shown]
	v_fmac_f32_e32 v80, v24, v36
	v_fmac_f32_e32 v81, v25, v40
	;; [unrolled: 1-line block ×3, first 2 shown]
	v_fma_f32 v29, v67, v46, -v47
	v_sub_f32_e32 v46, v15, v27
	v_fma_f32 v24, v62, v36, -v37
	v_fma_f32 v25, v63, v40, -v41
	v_fmac_f32_e32 v82, v26, v42
	v_fma_f32 v26, v64, v42, -v43
	v_dual_mul_f32 v61, v79, v61 :: v_dual_fmac_f32 v84, v28, v44
	v_fma_f32 v28, v66, v44, -v45
	v_fmac_f32_e32 v86, v79, v60
	v_sub_f32_e32 v36, v68, v80
	v_dual_sub_f32 v43, v75, v24 :: v_dual_sub_f32 v24, v78, v81
	v_dual_sub_f32 v44, v72, v25 :: v_dual_sub_f32 v25, v77, v82
	;; [unrolled: 1-line block ×3, first 2 shown]
	v_fma_f32 v11, v11, v60, -v61
	v_sub_f32_e32 v27, v73, v84
	v_dual_sub_f32 v47, v48, v28 :: v_dual_sub_f32 v28, v74, v85
	v_dual_sub_f32 v60, v69, v29 :: v_dual_sub_f32 v29, v76, v86
	v_fma_f32 v37, v68, 2.0, -v36
	v_fma_f32 v38, v78, 2.0, -v24
	v_fma_f32 v39, v77, 2.0, -v25
	v_fma_f32 v63, v20, 2.0, -v45
	v_fma_f32 v20, v71, 2.0, -v26
	v_fma_f32 v40, v73, 2.0, -v27
	v_fma_f32 v41, v74, 2.0, -v28
	v_fma_f32 v42, v76, 2.0, -v29
	ds_store_2addr_b32 v3, v37, v36 offset1:56
	ds_store_2addr_b32 v30, v38, v24 offset1:56
	;; [unrolled: 1-line block ×4, first 2 shown]
	ds_store_2addr_b32 v13, v40, v41 offset0:120 offset1:136
	ds_store_2addr_b32 v13, v42, v27 offset0:152 offset1:176
	;; [unrolled: 1-line block ×3, first 2 shown]
	global_wb scope:SCOPE_SE
	s_wait_dscnt 0x0
	s_barrier_signal -1
	s_barrier_wait -1
	global_inv scope:SCOPE_SE
	ds_load_b32 v20, v1
	ds_load_2addr_b32 v[24:25], v3 offset0:112 offset1:128
	ds_load_2addr_b32 v[26:27], v3 offset0:144 offset1:160
	;; [unrolled: 1-line block ×3, first 2 shown]
	ds_load_b32 v37, v32
	ds_load_b32 v39, v33
	;; [unrolled: 1-line block ×6, first 2 shown]
	ds_load_b32 v42, v3 offset:832
	v_sub_f32_e32 v11, v70, v11
	v_fma_f32 v61, v75, 2.0, -v43
	v_fma_f32 v62, v72, 2.0, -v44
	;; [unrolled: 1-line block ×6, first 2 shown]
	global_wb scope:SCOPE_SE
	s_wait_dscnt 0x0
	s_barrier_signal -1
	s_barrier_wait -1
	global_inv scope:SCOPE_SE
	ds_store_2addr_b32 v3, v61, v43 offset1:56
	ds_store_2addr_b32 v30, v62, v44 offset1:56
	;; [unrolled: 1-line block ×4, first 2 shown]
	ds_store_2addr_b32 v13, v48, v64 offset0:120 offset1:136
	ds_store_2addr_b32 v13, v65, v47 offset0:152 offset1:176
	;; [unrolled: 1-line block ×3, first 2 shown]
	global_wb scope:SCOPE_SE
	s_wait_dscnt 0x0
	s_barrier_signal -1
	s_barrier_wait -1
	global_inv scope:SCOPE_SE
	s_and_saveexec_b32 s0, vcc_lo
	s_cbranch_execz .LBB0_15
; %bb.14:
	v_mov_b32_e32 v15, v21
	v_mad_co_u64_u32 v[64:65], null, s8, v55, 0
	v_mov_b32_e32 v13, v21
	v_mov_b32_e32 v11, v21
	s_delay_alu instid0(VALU_DEP_4)
	v_lshlrev_b64_e32 v[14:15], 3, v[14:15]
	v_mov_b32_e32 v9, v21
	v_mad_co_u64_u32 v[47:48], null, s8, v0, 0
	v_lshlrev_b64_e32 v[12:13], 3, v[12:13]
	v_lshlrev_b64_e32 v[10:11], 3, v[10:11]
	v_add_co_u32 v14, vcc_lo, s4, v14
	s_wait_alu 0xfffd
	v_add_co_ci_u32_e32 v15, vcc_lo, s5, v15, vcc_lo
	v_lshlrev_b64_e32 v[8:9], 3, v[8:9]
	v_add_co_u32 v12, vcc_lo, s4, v12
	s_wait_alu 0xfffd
	v_add_co_ci_u32_e32 v13, vcc_lo, s5, v13, vcc_lo
	v_add_co_u32 v10, vcc_lo, s4, v10
	s_wait_alu 0xfffd
	v_add_co_ci_u32_e32 v11, vcc_lo, s5, v11, vcc_lo
	;; [unrolled: 3-line block ×3, first 2 shown]
	s_clause 0x6
	global_load_b64 v[14:15], v[14:15], off offset:840
	global_load_b64 v[12:13], v[12:13], off offset:840
	global_load_b64 v[10:11], v[10:11], off offset:840
	global_load_b64 v[8:9], v[8:9], off offset:840
	global_load_b64 v[18:19], v[18:19], off offset:840
	global_load_b64 v[16:17], v[16:17], off offset:840
	global_load_b64 v[21:22], v[22:23], off offset:840
	ds_load_2addr_b32 v[43:44], v3 offset0:176 offset1:192
	ds_load_2addr_b32 v[45:46], v3 offset0:144 offset1:160
	ds_load_b32 v84, v35
	ds_load_b32 v85, v34
	;; [unrolled: 1-line block ×6, first 2 shown]
	ds_load_2addr_b32 v[30:31], v3 offset0:112 offset1:128
	ds_load_b32 v90, v3 offset:832
	ds_load_b32 v91, v1
	v_mul_lo_u32 v1, s9, v4
	v_mul_lo_u32 v23, s8, v5
	v_mad_co_u64_u32 v[3:4], null, s8, v4, 0
	v_add_co_u32 v92, vcc_lo, s10, v6
	v_mad_co_u64_u32 v[5:6], null, s8, v59, 0
	v_mad_co_u64_u32 v[34:35], null, s8, v57, 0
	;; [unrolled: 1-line block ×4, first 2 shown]
	v_add3_u32 v4, v4, v23, v1
	v_mov_b32_e32 v1, v6
	s_wait_alu 0xfffd
	v_add_co_ci_u32_e32 v93, vcc_lo, s11, v7, vcc_lo
	v_mov_b32_e32 v7, v35
	v_mov_b32_e32 v23, v48
	v_mad_co_u64_u32 v[32:33], null, s8, v2, 0
	v_mad_co_u64_u32 v[60:61], null, s8, v58, 0
	;; [unrolled: 1-line block ×5, first 2 shown]
	v_dual_mov_b32 v48, v65 :: v_dual_mov_b32 v65, v71
	v_mov_b32_e32 v71, v77
	v_mad_co_u64_u32 v[77:78], null, s9, v59, v[1:2]
	v_mad_co_u64_u32 v[74:75], null, s8, v52, 0
	v_mad_co_u64_u32 v[72:73], null, s8, v53, 0
	v_dual_mov_b32 v6, v33 :: v_dual_mov_b32 v33, v61
	v_mov_b32_e32 v35, v63
	v_mov_b32_e32 v63, v69
	;; [unrolled: 1-line block ×3, first 2 shown]
	s_delay_alu instid0(VALU_DEP_4) | instskip(SKIP_2) | instid1(VALU_DEP_1)
	v_mad_co_u64_u32 v[1:2], null, s9, v2, v[6:7]
	v_mov_b32_e32 v6, v77
	v_lshlrev_b64_e32 v[3:4], 3, v[3:4]
	v_add_co_u32 v2, vcc_lo, v92, v3
	s_wait_alu 0xfffd
	s_delay_alu instid0(VALU_DEP_2)
	v_add_co_ci_u32_e32 v3, vcc_lo, v93, v4, vcc_lo
	s_wait_loadcnt 0x3
	v_mad_co_u64_u32 v[78:79], null, s9, v57, v[7:8]
	v_mad_co_u64_u32 v[79:80], null, s9, v0, v[23:24]
	v_mul_f32_e32 v23, v42, v15
	s_wait_dscnt 0x1
	v_mul_f32_e32 v15, v90, v15
	v_mad_co_u64_u32 v[57:58], null, s9, v58, v[33:34]
	v_mad_co_u64_u32 v[58:59], null, s9, v51, v[35:36]
	s_delay_alu instid0(VALU_DEP_3) | instskip(SKIP_4) | instid1(VALU_DEP_4)
	v_fmac_f32_e32 v15, v42, v14
	v_mov_b32_e32 v61, v67
	v_mov_b32_e32 v67, v73
	v_mad_co_u64_u32 v[80:81], null, s9, v55, v[48:49]
	v_mad_co_u64_u32 v[55:56], null, s9, v56, v[63:64]
	v_mad_co_u64_u32 v[50:51], null, s9, v50, v[61:62]
	v_mad_co_u64_u32 v[81:82], null, s9, v49, v[65:66]
	v_mad_co_u64_u32 v[51:52], null, s9, v52, v[69:70]
	v_mad_co_u64_u32 v[82:83], null, s9, v53, v[67:68]
	v_mad_co_u64_u32 v[52:53], null, s9, v54, v[71:72]
	v_mov_b32_e32 v67, v50
	v_mov_b32_e32 v69, v55
	;; [unrolled: 1-line block ×4, first 2 shown]
	v_dual_mov_b32 v35, v78 :: v_dual_mov_b32 v48, v79
	v_mov_b32_e32 v77, v52
	v_lshlrev_b64_e32 v[51:52], 3, v[66:67]
	v_lshlrev_b64_e32 v[53:54], 3, v[68:69]
	s_wait_loadcnt 0x1
	v_mul_f32_e32 v67, v25, v17
	s_wait_loadcnt 0x0
	v_dual_mul_f32 v68, v31, v17 :: v_dual_mul_f32 v17, v24, v22
	v_lshlrev_b64_e32 v[49:50], 3, v[64:65]
	v_mul_f32_e32 v64, v28, v11
	v_mul_f32_e32 v65, v43, v11
	;; [unrolled: 1-line block ×6, first 2 shown]
	v_fma_f32 v22, v90, v14, -v23
	v_fmac_f32_e32 v68, v25, v16
	v_fma_f32 v25, v30, v21, -v17
	v_mov_b32_e32 v33, v1
	v_lshlrev_b64_e32 v[0:1], 3, v[5:6]
	v_fmac_f32_e32 v66, v27, v8
	v_fma_f32 v27, v45, v18, -v9
	s_wait_dscnt 0x0
	v_dual_sub_f32 v9, v84, v22 :: v_dual_sub_f32 v22, v91, v25
	v_lshlrev_b64_e32 v[4:5], 3, v[32:33]
	v_lshlrev_b64_e32 v[6:7], 3, v[34:35]
	v_add_co_u32 v0, vcc_lo, v92, v0
	v_mov_b32_e32 v61, v57
	s_wait_alu 0xfffd
	v_add_co_ci_u32_e32 v1, vcc_lo, v93, v1, vcc_lo
	v_lshlrev_b64_e32 v[32:33], 3, v[47:48]
	v_add_co_u32 v4, vcc_lo, v92, v4
	v_mov_b32_e32 v63, v58
	s_wait_alu 0xfffd
	v_add_co_ci_u32_e32 v5, vcc_lo, v93, v5, vcc_lo
	v_lshlrev_b64_e32 v[34:35], 3, v[60:61]
	v_add_co_u32 v6, vcc_lo, v92, v6
	s_wait_alu 0xfffd
	v_add_co_ci_u32_e32 v7, vcc_lo, v93, v7, vcc_lo
	v_lshlrev_b64_e32 v[47:48], 3, v[62:63]
	v_add_co_u32 v32, vcc_lo, v92, v32
	s_wait_alu 0xfffd
	v_add_co_ci_u32_e32 v33, vcc_lo, v93, v33, vcc_lo
	v_add_co_u32 v34, vcc_lo, v92, v34
	s_wait_alu 0xfffd
	v_add_co_ci_u32_e32 v35, vcc_lo, v93, v35, vcc_lo
	v_add_co_u32 v47, vcc_lo, v92, v47
	v_mov_b32_e32 v71, v81
	s_wait_alu 0xfffd
	v_add_co_ci_u32_e32 v48, vcc_lo, v93, v48, vcc_lo
	v_add_co_u32 v49, vcc_lo, v92, v49
	v_mul_f32_e32 v63, v29, v13
	v_mul_f32_e32 v13, v44, v13
	v_mov_b32_e32 v73, v82
	s_wait_alu 0xfffd
	v_add_co_ci_u32_e32 v50, vcc_lo, v93, v50, vcc_lo
	v_mul_f32_e32 v19, v45, v19
	v_lshlrev_b64_e32 v[55:56], 3, v[70:71]
	v_add_co_u32 v51, vcc_lo, v92, v51
	s_wait_alu 0xfffd
	v_add_co_ci_u32_e32 v52, vcc_lo, v93, v52, vcc_lo
	v_fma_f32 v14, v44, v12, -v63
	v_fmac_f32_e32 v13, v29, v12
	v_fma_f32 v12, v43, v10, -v64
	v_fmac_f32_e32 v65, v28, v10
	v_fmac_f32_e32 v69, v24, v21
	v_lshlrev_b64_e32 v[57:58], 3, v[72:73]
	v_add_co_u32 v53, vcc_lo, v92, v53
	v_fmac_f32_e32 v19, v26, v18
	v_fma_f32 v18, v31, v16, -v67
	s_wait_alu 0xfffd
	v_add_co_ci_u32_e32 v54, vcc_lo, v93, v54, vcc_lo
	v_lshlrev_b64_e32 v[59:60], 3, v[74:75]
	v_add_co_u32 v55, vcc_lo, v92, v55
	v_fma_f32 v23, v46, v8, -v11
	v_dual_sub_f32 v10, v40, v13 :: v_dual_sub_f32 v13, v86, v12
	v_sub_f32_e32 v12, v39, v65
	v_sub_f32_e32 v21, v20, v69
	s_wait_alu 0xfffd
	v_add_co_ci_u32_e32 v56, vcc_lo, v93, v56, vcc_lo
	v_lshlrev_b64_e32 v[61:62], 3, v[76:77]
	v_add_co_u32 v57, vcc_lo, v92, v57
	v_sub_f32_e32 v8, v41, v15
	v_dual_sub_f32 v16, v36, v19 :: v_dual_sub_f32 v19, v89, v18
	v_sub_f32_e32 v18, v38, v68
	s_wait_alu 0xfffd
	v_add_co_ci_u32_e32 v58, vcc_lo, v93, v58, vcc_lo
	v_sub_f32_e32 v11, v85, v14
	v_dual_sub_f32 v14, v37, v66 :: v_dual_sub_f32 v17, v88, v27
	v_add_co_u32 v59, vcc_lo, v92, v59
	v_sub_f32_e32 v15, v87, v23
	v_fma_f32 v25, v40, 2.0, -v10
	v_fma_f32 v27, v39, 2.0, -v12
	v_fma_f32 v40, v91, 2.0, -v22
	v_fma_f32 v39, v20, 2.0, -v21
	s_wait_alu 0xfffd
	v_add_co_ci_u32_e32 v60, vcc_lo, v93, v60, vcc_lo
	v_fma_f32 v23, v41, 2.0, -v8
	v_fma_f32 v42, v89, 2.0, -v19
	;; [unrolled: 1-line block ×3, first 2 shown]
	v_add_co_u32 v61, vcc_lo, v92, v61
	v_fma_f32 v29, v37, 2.0, -v14
	v_fma_f32 v37, v88, 2.0, -v17
	;; [unrolled: 1-line block ×3, first 2 shown]
	s_wait_alu 0xfffd
	v_add_co_ci_u32_e32 v62, vcc_lo, v93, v62, vcc_lo
	v_fma_f32 v24, v84, 2.0, -v9
	v_fma_f32 v26, v85, 2.0, -v11
	;; [unrolled: 1-line block ×4, first 2 shown]
	s_clause 0xd
	global_store_b64 v[2:3], v[39:40], off
	global_store_b64 v[0:1], v[21:22], off
	;; [unrolled: 1-line block ×14, first 2 shown]
.LBB0_15:
	s_nop 0
	s_sendmsg sendmsg(MSG_DEALLOC_VGPRS)
	s_endpgm
	.section	.rodata,"a",@progbits
	.p2align	6, 0x0
	.amdhsa_kernel fft_rtc_back_len224_factors_7_2_2_2_2_2_wgs_64_tpt_16_halfLds_sp_ip_CI_sbrr_dirReg
		.amdhsa_group_segment_fixed_size 0
		.amdhsa_private_segment_fixed_size 0
		.amdhsa_kernarg_size 88
		.amdhsa_user_sgpr_count 2
		.amdhsa_user_sgpr_dispatch_ptr 0
		.amdhsa_user_sgpr_queue_ptr 0
		.amdhsa_user_sgpr_kernarg_segment_ptr 1
		.amdhsa_user_sgpr_dispatch_id 0
		.amdhsa_user_sgpr_private_segment_size 0
		.amdhsa_wavefront_size32 1
		.amdhsa_uses_dynamic_stack 0
		.amdhsa_enable_private_segment 0
		.amdhsa_system_sgpr_workgroup_id_x 1
		.amdhsa_system_sgpr_workgroup_id_y 0
		.amdhsa_system_sgpr_workgroup_id_z 0
		.amdhsa_system_sgpr_workgroup_info 0
		.amdhsa_system_vgpr_workitem_id 0
		.amdhsa_next_free_vgpr 101
		.amdhsa_next_free_sgpr 35
		.amdhsa_reserve_vcc 1
		.amdhsa_float_round_mode_32 0
		.amdhsa_float_round_mode_16_64 0
		.amdhsa_float_denorm_mode_32 3
		.amdhsa_float_denorm_mode_16_64 3
		.amdhsa_fp16_overflow 0
		.amdhsa_workgroup_processor_mode 1
		.amdhsa_memory_ordered 1
		.amdhsa_forward_progress 0
		.amdhsa_round_robin_scheduling 0
		.amdhsa_exception_fp_ieee_invalid_op 0
		.amdhsa_exception_fp_denorm_src 0
		.amdhsa_exception_fp_ieee_div_zero 0
		.amdhsa_exception_fp_ieee_overflow 0
		.amdhsa_exception_fp_ieee_underflow 0
		.amdhsa_exception_fp_ieee_inexact 0
		.amdhsa_exception_int_div_zero 0
	.end_amdhsa_kernel
	.text
.Lfunc_end0:
	.size	fft_rtc_back_len224_factors_7_2_2_2_2_2_wgs_64_tpt_16_halfLds_sp_ip_CI_sbrr_dirReg, .Lfunc_end0-fft_rtc_back_len224_factors_7_2_2_2_2_2_wgs_64_tpt_16_halfLds_sp_ip_CI_sbrr_dirReg
                                        ; -- End function
	.section	.AMDGPU.csdata,"",@progbits
; Kernel info:
; codeLenInByte = 10704
; NumSgprs: 37
; NumVgprs: 101
; ScratchSize: 0
; MemoryBound: 0
; FloatMode: 240
; IeeeMode: 1
; LDSByteSize: 0 bytes/workgroup (compile time only)
; SGPRBlocks: 4
; VGPRBlocks: 12
; NumSGPRsForWavesPerEU: 37
; NumVGPRsForWavesPerEU: 101
; Occupancy: 12
; WaveLimiterHint : 1
; COMPUTE_PGM_RSRC2:SCRATCH_EN: 0
; COMPUTE_PGM_RSRC2:USER_SGPR: 2
; COMPUTE_PGM_RSRC2:TRAP_HANDLER: 0
; COMPUTE_PGM_RSRC2:TGID_X_EN: 1
; COMPUTE_PGM_RSRC2:TGID_Y_EN: 0
; COMPUTE_PGM_RSRC2:TGID_Z_EN: 0
; COMPUTE_PGM_RSRC2:TIDIG_COMP_CNT: 0
	.text
	.p2alignl 7, 3214868480
	.fill 96, 4, 3214868480
	.type	__hip_cuid_10da065ca2effdd3,@object ; @__hip_cuid_10da065ca2effdd3
	.section	.bss,"aw",@nobits
	.globl	__hip_cuid_10da065ca2effdd3
__hip_cuid_10da065ca2effdd3:
	.byte	0                               ; 0x0
	.size	__hip_cuid_10da065ca2effdd3, 1

	.ident	"AMD clang version 19.0.0git (https://github.com/RadeonOpenCompute/llvm-project roc-6.4.0 25133 c7fe45cf4b819c5991fe208aaa96edf142730f1d)"
	.section	".note.GNU-stack","",@progbits
	.addrsig
	.addrsig_sym __hip_cuid_10da065ca2effdd3
	.amdgpu_metadata
---
amdhsa.kernels:
  - .args:
      - .actual_access:  read_only
        .address_space:  global
        .offset:         0
        .size:           8
        .value_kind:     global_buffer
      - .offset:         8
        .size:           8
        .value_kind:     by_value
      - .actual_access:  read_only
        .address_space:  global
        .offset:         16
        .size:           8
        .value_kind:     global_buffer
      - .actual_access:  read_only
        .address_space:  global
        .offset:         24
        .size:           8
        .value_kind:     global_buffer
      - .offset:         32
        .size:           8
        .value_kind:     by_value
      - .actual_access:  read_only
        .address_space:  global
        .offset:         40
        .size:           8
        .value_kind:     global_buffer
      - .actual_access:  read_only
        .address_space:  global
        .offset:         48
        .size:           8
        .value_kind:     global_buffer
      - .offset:         56
        .size:           4
        .value_kind:     by_value
      - .actual_access:  read_only
        .address_space:  global
        .offset:         64
        .size:           8
        .value_kind:     global_buffer
      - .actual_access:  read_only
        .address_space:  global
        .offset:         72
        .size:           8
        .value_kind:     global_buffer
      - .address_space:  global
        .offset:         80
        .size:           8
        .value_kind:     global_buffer
    .group_segment_fixed_size: 0
    .kernarg_segment_align: 8
    .kernarg_segment_size: 88
    .language:       OpenCL C
    .language_version:
      - 2
      - 0
    .max_flat_workgroup_size: 64
    .name:           fft_rtc_back_len224_factors_7_2_2_2_2_2_wgs_64_tpt_16_halfLds_sp_ip_CI_sbrr_dirReg
    .private_segment_fixed_size: 0
    .sgpr_count:     37
    .sgpr_spill_count: 0
    .symbol:         fft_rtc_back_len224_factors_7_2_2_2_2_2_wgs_64_tpt_16_halfLds_sp_ip_CI_sbrr_dirReg.kd
    .uniform_work_group_size: 1
    .uses_dynamic_stack: false
    .vgpr_count:     101
    .vgpr_spill_count: 0
    .wavefront_size: 32
    .workgroup_processor_mode: 1
amdhsa.target:   amdgcn-amd-amdhsa--gfx1201
amdhsa.version:
  - 1
  - 2
...

	.end_amdgpu_metadata
